;; amdgpu-corpus repo=ROCm/rocFFT kind=compiled arch=gfx1201 opt=O3
	.text
	.amdgcn_target "amdgcn-amd-amdhsa--gfx1201"
	.amdhsa_code_object_version 6
	.protected	fft_rtc_fwd_len256_factors_8_4_8_wgs_256_tpt_32_half_op_CI_CI_sbcc_twdbase5_3step_dirReg_intrinsicReadWrite ; -- Begin function fft_rtc_fwd_len256_factors_8_4_8_wgs_256_tpt_32_half_op_CI_CI_sbcc_twdbase5_3step_dirReg_intrinsicReadWrite
	.globl	fft_rtc_fwd_len256_factors_8_4_8_wgs_256_tpt_32_half_op_CI_CI_sbcc_twdbase5_3step_dirReg_intrinsicReadWrite
	.p2align	8
	.type	fft_rtc_fwd_len256_factors_8_4_8_wgs_256_tpt_32_half_op_CI_CI_sbcc_twdbase5_3step_dirReg_intrinsicReadWrite,@function
fft_rtc_fwd_len256_factors_8_4_8_wgs_256_tpt_32_half_op_CI_CI_sbcc_twdbase5_3step_dirReg_intrinsicReadWrite: ; @fft_rtc_fwd_len256_factors_8_4_8_wgs_256_tpt_32_half_op_CI_CI_sbcc_twdbase5_3step_dirReg_intrinsicReadWrite
; %bb.0:
	s_clause 0x1
	s_load_b256 s[4:11], s[0:1], 0x8
	s_load_b64 s[24:25], s[0:1], 0x28
	s_mov_b32 s28, ttmp9
	s_mov_b32 s2, exec_lo
	v_cmpx_gt_u32_e32 0x60, v0
	s_cbranch_execz .LBB0_2
; %bb.1:
	v_lshlrev_b32_e32 v1, 2, v0
	s_wait_kmcnt 0x0
	global_load_b32 v2, v1, s[4:5]
	v_add_nc_u32_e32 v1, 0, v1
	s_wait_loadcnt 0x0
	ds_store_b32 v1, v2 offset:8192
.LBB0_2:
	s_or_b32 exec_lo, exec_lo, s2
	s_wait_kmcnt 0x0
	s_load_b64 s[26:27], s[8:9], 0x8
	s_mov_b32 s29, 0
	s_mov_b64 s[4:5], 0
	s_wait_kmcnt 0x0
	s_add_nc_u64 s[2:3], s[26:27], -1
	s_delay_alu instid0(SALU_CYCLE_1) | instskip(NEXT) | instid1(SALU_CYCLE_1)
	s_lshr_b64 s[2:3], s[2:3], 3
	s_add_nc_u64 s[30:31], s[2:3], 1
	s_delay_alu instid0(SALU_CYCLE_1) | instskip(NEXT) | instid1(VALU_DEP_1)
	v_cmp_lt_u64_e64 s2, s[28:29], s[30:31]
	s_and_b32 vcc_lo, exec_lo, s2
	s_cbranch_vccnz .LBB0_4
; %bb.3:
	v_cvt_f32_u32_e32 v1, s30
	s_sub_co_i32 s3, 0, s30
	s_delay_alu instid0(VALU_DEP_1) | instskip(NEXT) | instid1(TRANS32_DEP_1)
	v_rcp_iflag_f32_e32 v1, v1
	v_mul_f32_e32 v1, 0x4f7ffffe, v1
	s_delay_alu instid0(VALU_DEP_1) | instskip(NEXT) | instid1(VALU_DEP_1)
	v_cvt_u32_f32_e32 v1, v1
	v_readfirstlane_b32 s2, v1
	s_delay_alu instid0(VALU_DEP_1) | instskip(NEXT) | instid1(SALU_CYCLE_1)
	s_mul_i32 s3, s3, s2
	s_mul_hi_u32 s3, s2, s3
	s_delay_alu instid0(SALU_CYCLE_1) | instskip(NEXT) | instid1(SALU_CYCLE_1)
	s_add_co_i32 s2, s2, s3
	s_mul_hi_u32 s2, s28, s2
	s_delay_alu instid0(SALU_CYCLE_1) | instskip(SKIP_2) | instid1(SALU_CYCLE_1)
	s_mul_i32 s3, s2, s30
	s_add_co_i32 s4, s2, 1
	s_sub_co_i32 s3, s28, s3
	s_sub_co_i32 s5, s3, s30
	s_cmp_ge_u32 s3, s30
	s_cselect_b32 s2, s4, s2
	s_cselect_b32 s3, s5, s3
	s_add_co_i32 s4, s2, 1
	s_cmp_ge_u32 s3, s30
	s_mov_b32 s5, s29
	s_cselect_b32 s4, s4, s2
.LBB0_4:
	s_load_b128 s[20:23], s[10:11], 0x0
	s_load_b128 s[16:19], s[24:25], 0x0
	s_clause 0x1
	s_load_b128 s[12:15], s[0:1], 0x60
	s_load_b64 s[2:3], s[0:1], 0x0
	s_wait_kmcnt 0x0
	v_cmp_lt_u64_e64 s17, s[6:7], 3
	s_mul_u64 s[0:1], s[4:5], s[30:31]
	s_delay_alu instid0(SALU_CYCLE_1) | instskip(NEXT) | instid1(SALU_CYCLE_1)
	s_sub_nc_u64 s[0:1], s[28:29], s[0:1]
	s_lshl_b64 s[36:37], s[0:1], 3
	s_delay_alu instid0(VALU_DEP_1)
	s_and_b32 vcc_lo, exec_lo, s17
	s_mul_u64 s[34:35], s[22:23], s[36:37]
	s_mul_u64 s[0:1], s[18:19], s[36:37]
	s_cbranch_vccnz .LBB0_14
; %bb.5:
	s_add_nc_u64 s[38:39], s[24:25], 16
	s_add_nc_u64 s[40:41], s[10:11], 16
	;; [unrolled: 1-line block ×3, first 2 shown]
	s_mov_b64 s[42:43], 2
	s_mov_b32 s44, 0
.LBB0_6:                                ; =>This Inner Loop Header: Depth=1
	s_load_b64 s[46:47], s[8:9], 0x0
                                        ; implicit-def: $sgpr50_sgpr51
	s_wait_kmcnt 0x0
	s_or_b64 s[48:49], s[4:5], s[46:47]
	s_delay_alu instid0(SALU_CYCLE_1)
	s_mov_b32 s45, s49
	s_mov_b32 s49, -1
	s_cmp_lg_u64 s[44:45], 0
	s_cbranch_scc0 .LBB0_8
; %bb.7:                                ;   in Loop: Header=BB0_6 Depth=1
	s_cvt_f32_u32 s17, s46
	s_cvt_f32_u32 s19, s47
	s_sub_nc_u64 s[52:53], 0, s[46:47]
	s_mov_b32 s49, 0
	s_mov_b32 s57, s44
	s_wait_alu 0xfffe
	s_fmamk_f32 s17, s19, 0x4f800000, s17
	s_wait_alu 0xfffe
	s_delay_alu instid0(SALU_CYCLE_2) | instskip(NEXT) | instid1(TRANS32_DEP_1)
	v_s_rcp_f32 s17, s17
	s_mul_f32 s17, s17, 0x5f7ffffc
	s_wait_alu 0xfffe
	s_delay_alu instid0(SALU_CYCLE_2) | instskip(NEXT) | instid1(SALU_CYCLE_3)
	s_mul_f32 s19, s17, 0x2f800000
	s_trunc_f32 s19, s19
	s_delay_alu instid0(SALU_CYCLE_3) | instskip(SKIP_2) | instid1(SALU_CYCLE_1)
	s_fmamk_f32 s17, s19, 0xcf800000, s17
	s_cvt_u32_f32 s51, s19
	s_wait_alu 0xfffe
	s_cvt_u32_f32 s50, s17
	s_wait_alu 0xfffe
	s_delay_alu instid0(SALU_CYCLE_2)
	s_mul_u64 s[54:55], s[52:53], s[50:51]
	s_wait_alu 0xfffe
	s_mul_hi_u32 s59, s50, s55
	s_mul_i32 s58, s50, s55
	s_mul_hi_u32 s48, s50, s54
	s_mul_i32 s19, s51, s54
	s_add_nc_u64 s[58:59], s[48:49], s[58:59]
	s_mul_hi_u32 s17, s51, s54
	s_mul_hi_u32 s21, s51, s55
	s_add_co_u32 s19, s58, s19
	s_wait_alu 0xfffe
	s_add_co_ci_u32 s56, s59, s17
	s_mul_i32 s54, s51, s55
	s_add_co_ci_u32 s55, s21, 0
	s_wait_alu 0xfffe
	s_add_nc_u64 s[54:55], s[56:57], s[54:55]
	s_wait_alu 0xfffe
	v_add_co_u32 v1, s17, s50, s54
	s_delay_alu instid0(VALU_DEP_1) | instskip(SKIP_1) | instid1(VALU_DEP_1)
	s_cmp_lg_u32 s17, 0
	s_add_co_ci_u32 s51, s51, s55
	v_readfirstlane_b32 s50, v1
	s_mov_b32 s55, s44
	s_wait_alu 0xfffe
	s_delay_alu instid0(VALU_DEP_1)
	s_mul_u64 s[52:53], s[52:53], s[50:51]
	s_wait_alu 0xfffe
	s_mul_hi_u32 s57, s50, s53
	s_mul_i32 s56, s50, s53
	s_mul_hi_u32 s48, s50, s52
	s_mul_i32 s19, s51, s52
	s_add_nc_u64 s[56:57], s[48:49], s[56:57]
	s_mul_hi_u32 s17, s51, s52
	s_mul_hi_u32 s21, s51, s53
	s_add_co_u32 s19, s56, s19
	s_wait_alu 0xfffe
	s_add_co_ci_u32 s54, s57, s17
	s_mul_i32 s52, s51, s53
	s_add_co_ci_u32 s53, s21, 0
	s_wait_alu 0xfffe
	s_add_nc_u64 s[52:53], s[54:55], s[52:53]
	s_wait_alu 0xfffe
	v_add_co_u32 v1, s17, v1, s52
	s_delay_alu instid0(VALU_DEP_1) | instskip(SKIP_1) | instid1(VALU_DEP_1)
	s_cmp_lg_u32 s17, 0
	s_add_co_ci_u32 s17, s51, s53
	v_readfirstlane_b32 s19, v1
	s_wait_alu 0xfffe
	s_mul_hi_u32 s51, s4, s17
	s_mul_i32 s50, s4, s17
	s_mul_hi_u32 s21, s5, s17
	s_mul_i32 s52, s5, s17
	;; [unrolled: 2-line block ×3, first 2 shown]
	s_wait_alu 0xfffe
	s_add_nc_u64 s[50:51], s[48:49], s[50:51]
	s_mul_hi_u32 s19, s5, s19
	s_wait_alu 0xfffe
	s_add_co_u32 s17, s50, s17
	s_add_co_ci_u32 s54, s51, s19
	s_add_co_ci_u32 s53, s21, 0
	s_wait_alu 0xfffe
	s_add_nc_u64 s[50:51], s[54:55], s[52:53]
	s_wait_alu 0xfffe
	s_mul_u64 s[52:53], s[46:47], s[50:51]
	s_add_nc_u64 s[54:55], s[50:51], 1
	s_wait_alu 0xfffe
	v_sub_co_u32 v1, s17, s4, s52
	s_sub_co_i32 s19, s5, s53
	s_cmp_lg_u32 s17, 0
	s_add_nc_u64 s[56:57], s[50:51], 2
	s_delay_alu instid0(VALU_DEP_1) | instskip(SKIP_2) | instid1(VALU_DEP_1)
	v_sub_co_u32 v2, s21, v1, s46
	s_sub_co_ci_u32 s19, s19, s47
	s_cmp_lg_u32 s21, 0
	v_readfirstlane_b32 s21, v2
	s_sub_co_ci_u32 s19, s19, 0
	s_delay_alu instid0(SALU_CYCLE_1) | instskip(SKIP_1) | instid1(VALU_DEP_1)
	s_cmp_ge_u32 s19, s47
	s_cselect_b32 s33, -1, 0
	s_cmp_ge_u32 s21, s46
	s_cselect_b32 s21, -1, 0
	s_cmp_eq_u32 s19, s47
	s_cselect_b32 s19, s21, s33
	s_delay_alu instid0(SALU_CYCLE_1)
	s_cmp_lg_u32 s19, 0
	s_cselect_b32 s19, s56, s54
	s_cselect_b32 s21, s57, s55
	s_cmp_lg_u32 s17, 0
	v_readfirstlane_b32 s17, v1
	s_sub_co_ci_u32 s33, s5, s53
	s_delay_alu instid0(SALU_CYCLE_1) | instskip(SKIP_1) | instid1(VALU_DEP_1)
	s_cmp_ge_u32 s33, s47
	s_cselect_b32 s45, -1, 0
	s_cmp_ge_u32 s17, s46
	s_cselect_b32 s17, -1, 0
	s_cmp_eq_u32 s33, s47
	s_wait_alu 0xfffe
	s_cselect_b32 s17, s17, s45
	s_wait_alu 0xfffe
	s_cmp_lg_u32 s17, 0
	s_cselect_b32 s51, s21, s51
	s_cselect_b32 s50, s19, s50
.LBB0_8:                                ;   in Loop: Header=BB0_6 Depth=1
	s_and_not1_b32 vcc_lo, exec_lo, s49
	s_cbranch_vccnz .LBB0_10
; %bb.9:                                ;   in Loop: Header=BB0_6 Depth=1
	v_cvt_f32_u32_e32 v1, s46
	s_sub_co_i32 s19, 0, s46
	s_mov_b32 s51, s44
	s_delay_alu instid0(VALU_DEP_1) | instskip(NEXT) | instid1(TRANS32_DEP_1)
	v_rcp_iflag_f32_e32 v1, v1
	v_mul_f32_e32 v1, 0x4f7ffffe, v1
	s_delay_alu instid0(VALU_DEP_1) | instskip(NEXT) | instid1(VALU_DEP_1)
	v_cvt_u32_f32_e32 v1, v1
	v_readfirstlane_b32 s17, v1
	s_delay_alu instid0(VALU_DEP_1) | instskip(NEXT) | instid1(SALU_CYCLE_1)
	s_mul_i32 s19, s19, s17
	s_mul_hi_u32 s19, s17, s19
	s_delay_alu instid0(SALU_CYCLE_1)
	s_add_co_i32 s17, s17, s19
	s_wait_alu 0xfffe
	s_mul_hi_u32 s17, s4, s17
	s_wait_alu 0xfffe
	s_mul_i32 s19, s17, s46
	s_add_co_i32 s21, s17, 1
	s_sub_co_i32 s19, s4, s19
	s_delay_alu instid0(SALU_CYCLE_1)
	s_sub_co_i32 s33, s19, s46
	s_cmp_ge_u32 s19, s46
	s_cselect_b32 s17, s21, s17
	s_cselect_b32 s19, s33, s19
	s_wait_alu 0xfffe
	s_add_co_i32 s21, s17, 1
	s_cmp_ge_u32 s19, s46
	s_cselect_b32 s50, s21, s17
.LBB0_10:                               ;   in Loop: Header=BB0_6 Depth=1
	s_load_b64 s[48:49], s[40:41], 0x0
	s_load_b64 s[52:53], s[38:39], 0x0
	s_add_nc_u64 s[42:43], s[42:43], 1
	s_mul_u64 s[30:31], s[46:47], s[30:31]
	s_wait_alu 0xfffe
	v_cmp_ge_u64_e64 s17, s[42:43], s[6:7]
	s_mul_u64 s[46:47], s[50:51], s[46:47]
	s_add_nc_u64 s[38:39], s[38:39], 8
	s_wait_alu 0xfffe
	s_sub_nc_u64 s[4:5], s[4:5], s[46:47]
	s_add_nc_u64 s[40:41], s[40:41], 8
	s_add_nc_u64 s[8:9], s[8:9], 8
	s_and_b32 vcc_lo, exec_lo, s17
	s_wait_kmcnt 0x0
	s_wait_alu 0xfffe
	s_mul_u64 s[46:47], s[48:49], s[4:5]
	s_mul_u64 s[4:5], s[52:53], s[4:5]
	s_wait_alu 0xfffe
	s_add_nc_u64 s[34:35], s[46:47], s[34:35]
	s_add_nc_u64 s[0:1], s[4:5], s[0:1]
	s_cbranch_vccnz .LBB0_12
; %bb.11:                               ;   in Loop: Header=BB0_6 Depth=1
	s_mov_b64 s[4:5], s[50:51]
	s_branch .LBB0_6
.LBB0_12:
	v_cmp_lt_u64_e64 s1, s[28:29], s[30:31]
	s_mov_b64 s[4:5], 0
	s_delay_alu instid0(VALU_DEP_1)
	s_and_b32 vcc_lo, exec_lo, s1
	s_cbranch_vccnz .LBB0_14
; %bb.13:
	v_cvt_f32_u32_e32 v1, s30
	s_sub_co_i32 s4, 0, s30
	s_delay_alu instid0(VALU_DEP_1) | instskip(NEXT) | instid1(TRANS32_DEP_1)
	v_rcp_iflag_f32_e32 v1, v1
	v_mul_f32_e32 v1, 0x4f7ffffe, v1
	s_delay_alu instid0(VALU_DEP_1) | instskip(NEXT) | instid1(VALU_DEP_1)
	v_cvt_u32_f32_e32 v1, v1
	v_readfirstlane_b32 s1, v1
	s_wait_alu 0xfffe
	s_delay_alu instid0(VALU_DEP_1) | instskip(SKIP_4) | instid1(SALU_CYCLE_1)
	s_mul_i32 s4, s4, s1
	s_wait_alu 0xfffe
	s_mul_hi_u32 s4, s1, s4
	s_wait_alu 0xfffe
	s_add_co_i32 s1, s1, s4
	s_mul_hi_u32 s1, s28, s1
	s_delay_alu instid0(SALU_CYCLE_1)
	s_mul_i32 s4, s1, s30
	s_add_co_i32 s5, s1, 1
	s_wait_alu 0xfffe
	s_sub_co_i32 s4, s28, s4
	s_wait_alu 0xfffe
	s_sub_co_i32 s8, s4, s30
	s_cmp_ge_u32 s4, s30
	s_cselect_b32 s1, s5, s1
	s_cselect_b32 s4, s8, s4
	s_add_co_i32 s8, s1, 1
	s_wait_alu 0xfffe
	s_cmp_ge_u32 s4, s30
	s_mov_b32 s5, 0
	s_cselect_b32 s4, s8, s1
.LBB0_14:
	s_lshl_b64 s[6:7], s[6:7], 3
	v_dual_mov_b32 v8, s37 :: v_dual_and_b32 v9, 7, v0
	s_wait_alu 0xfffe
	s_add_nc_u64 s[8:9], s[10:11], s[6:7]
	v_mov_b32_e32 v3, 0
	s_load_b64 s[8:9], s[8:9], 0x0
	v_mad_co_u64_u32 v[1:2], null, s22, v9, 0
	v_or_b32_e32 v7, s36, v9
	s_add_nc_u64 s[10:11], s[36:37], 8
	v_lshrrev_b32_e32 v14, 3, v0
	v_cmp_le_u64_e64 s1, s[10:11], s[26:27]
	s_delay_alu instid0(VALU_DEP_3) | instskip(SKIP_2) | instid1(VALU_DEP_4)
	v_cmp_gt_u64_e32 vcc_lo, s[26:27], v[7:8]
	v_mad_co_u64_u32 v[4:5], null, s23, v9, v[2:3]
	v_mov_b32_e32 v4, 0
	s_or_b32 s1, s1, vcc_lo
	s_wait_kmcnt 0x0
	s_mul_u64 s[8:9], s[8:9], s[4:5]
	s_delay_alu instid0(SALU_CYCLE_1)
	s_add_nc_u64 s[8:9], s[8:9], s[34:35]
	s_and_saveexec_b32 s5, s1
	s_cbranch_execz .LBB0_16
; %bb.15:
	v_mul_lo_u32 v2, s20, v14
	v_mov_b32_e32 v5, 0
	s_delay_alu instid0(VALU_DEP_2) | instskip(NEXT) | instid1(VALU_DEP_1)
	v_add3_u32 v4, s8, v1, v2
	v_lshlrev_b64_e32 v[4:5], 2, v[4:5]
	s_delay_alu instid0(VALU_DEP_1) | instskip(NEXT) | instid1(VALU_DEP_2)
	v_add_co_u32 v4, vcc_lo, s12, v4
	v_add_co_ci_u32_e32 v5, vcc_lo, s13, v5, vcc_lo
	global_load_b32 v4, v[4:5], off
.LBB0_16:
	s_wait_alu 0xfffe
	s_or_b32 exec_lo, exec_lo, s5
	v_add_nc_u32_e32 v2, 32, v14
	s_and_saveexec_b32 s5, s1
	s_cbranch_execz .LBB0_18
; %bb.17:
	s_delay_alu instid0(VALU_DEP_1) | instskip(SKIP_1) | instid1(VALU_DEP_2)
	v_mul_lo_u32 v3, s20, v2
	v_mov_b32_e32 v6, 0
	v_add3_u32 v5, s8, v1, v3
	s_delay_alu instid0(VALU_DEP_1) | instskip(NEXT) | instid1(VALU_DEP_1)
	v_lshlrev_b64_e32 v[5:6], 2, v[5:6]
	v_add_co_u32 v5, vcc_lo, s12, v5
	s_wait_alu 0xfffd
	s_delay_alu instid0(VALU_DEP_2)
	v_add_co_ci_u32_e32 v6, vcc_lo, s13, v6, vcc_lo
	global_load_b32 v3, v[5:6], off
.LBB0_18:
	s_wait_alu 0xfffe
	s_or_b32 exec_lo, exec_lo, s5
	v_dual_mov_b32 v5, 0 :: v_dual_mov_b32 v6, 0
	s_and_saveexec_b32 s5, s1
	s_cbranch_execz .LBB0_20
; %bb.19:
	v_dual_mov_b32 v11, 0 :: v_dual_add_nc_u32 v6, 64, v14
	s_delay_alu instid0(VALU_DEP_1) | instskip(NEXT) | instid1(VALU_DEP_1)
	v_mul_lo_u32 v6, s20, v6
	v_add3_u32 v10, s8, v1, v6
	s_delay_alu instid0(VALU_DEP_1) | instskip(NEXT) | instid1(VALU_DEP_1)
	v_lshlrev_b64_e32 v[10:11], 2, v[10:11]
	v_add_co_u32 v10, vcc_lo, s12, v10
	s_wait_alu 0xfffd
	s_delay_alu instid0(VALU_DEP_2)
	v_add_co_ci_u32_e32 v11, vcc_lo, s13, v11, vcc_lo
	global_load_b32 v6, v[10:11], off
.LBB0_20:
	s_wait_alu 0xfffe
	s_or_b32 exec_lo, exec_lo, s5
	s_and_saveexec_b32 s5, s1
	s_cbranch_execz .LBB0_22
; %bb.21:
	v_add_nc_u32_e32 v5, 0x60, v14
	v_mov_b32_e32 v11, 0
	s_delay_alu instid0(VALU_DEP_2) | instskip(NEXT) | instid1(VALU_DEP_1)
	v_mul_lo_u32 v5, s20, v5
	v_add3_u32 v10, s8, v1, v5
	s_delay_alu instid0(VALU_DEP_1) | instskip(NEXT) | instid1(VALU_DEP_1)
	v_lshlrev_b64_e32 v[10:11], 2, v[10:11]
	v_add_co_u32 v10, vcc_lo, s12, v10
	s_wait_alu 0xfffd
	s_delay_alu instid0(VALU_DEP_2)
	v_add_co_ci_u32_e32 v11, vcc_lo, s13, v11, vcc_lo
	global_load_b32 v5, v[10:11], off
.LBB0_22:
	s_wait_alu 0xfffe
	s_or_b32 exec_lo, exec_lo, s5
	v_mov_b32_e32 v8, 0
	v_mov_b32_e32 v10, 0
	s_and_saveexec_b32 s5, s1
	s_cbranch_execz .LBB0_24
; %bb.23:
	v_or_b32_e32 v10, 0x80, v14
	v_mov_b32_e32 v11, 0
	s_delay_alu instid0(VALU_DEP_2) | instskip(NEXT) | instid1(VALU_DEP_1)
	v_mul_lo_u32 v10, s20, v10
	v_add3_u32 v10, s8, v1, v10
	s_delay_alu instid0(VALU_DEP_1) | instskip(NEXT) | instid1(VALU_DEP_1)
	v_lshlrev_b64_e32 v[10:11], 2, v[10:11]
	v_add_co_u32 v10, vcc_lo, s12, v10
	s_wait_alu 0xfffd
	s_delay_alu instid0(VALU_DEP_2)
	v_add_co_ci_u32_e32 v11, vcc_lo, s13, v11, vcc_lo
	global_load_b32 v10, v[10:11], off
.LBB0_24:
	s_wait_alu 0xfffe
	s_or_b32 exec_lo, exec_lo, s5
	s_and_saveexec_b32 s5, s1
	s_cbranch_execz .LBB0_26
; %bb.25:
	v_add_nc_u32_e32 v8, 0xa0, v14
	v_mov_b32_e32 v12, 0
	s_delay_alu instid0(VALU_DEP_2) | instskip(NEXT) | instid1(VALU_DEP_1)
	v_mul_lo_u32 v8, s20, v8
	v_add3_u32 v11, s8, v1, v8
	s_delay_alu instid0(VALU_DEP_1) | instskip(NEXT) | instid1(VALU_DEP_1)
	v_lshlrev_b64_e32 v[11:12], 2, v[11:12]
	v_add_co_u32 v11, vcc_lo, s12, v11
	s_wait_alu 0xfffd
	s_delay_alu instid0(VALU_DEP_2)
	v_add_co_ci_u32_e32 v12, vcc_lo, s13, v12, vcc_lo
	global_load_b32 v8, v[11:12], off
.LBB0_26:
	s_wait_alu 0xfffe
	s_or_b32 exec_lo, exec_lo, s5
	v_dual_mov_b32 v11, 0 :: v_dual_mov_b32 v12, 0
	s_and_saveexec_b32 s5, s1
	s_cbranch_execz .LBB0_28
; %bb.27:
	v_dual_mov_b32 v13, 0 :: v_dual_add_nc_u32 v12, 0xc0, v14
	s_delay_alu instid0(VALU_DEP_1) | instskip(NEXT) | instid1(VALU_DEP_1)
	v_mul_lo_u32 v12, s20, v12
	v_add3_u32 v12, s8, v1, v12
	s_delay_alu instid0(VALU_DEP_1) | instskip(NEXT) | instid1(VALU_DEP_1)
	v_lshlrev_b64_e32 v[12:13], 2, v[12:13]
	v_add_co_u32 v12, vcc_lo, s12, v12
	s_wait_alu 0xfffd
	s_delay_alu instid0(VALU_DEP_2)
	v_add_co_ci_u32_e32 v13, vcc_lo, s13, v13, vcc_lo
	global_load_b32 v12, v[12:13], off
.LBB0_28:
	s_wait_alu 0xfffe
	s_or_b32 exec_lo, exec_lo, s5
	s_add_nc_u64 s[6:7], s[24:25], s[6:7]
	s_and_saveexec_b32 s5, s1
	s_cbranch_execz .LBB0_30
; %bb.29:
	v_dual_mov_b32 v16, 0 :: v_dual_add_nc_u32 v11, 0xe0, v14
	s_delay_alu instid0(VALU_DEP_1) | instskip(NEXT) | instid1(VALU_DEP_1)
	v_mul_lo_u32 v11, s20, v11
	v_add3_u32 v15, s8, v1, v11
	s_delay_alu instid0(VALU_DEP_1) | instskip(NEXT) | instid1(VALU_DEP_1)
	v_lshlrev_b64_e32 v[15:16], 2, v[15:16]
	v_add_co_u32 v15, vcc_lo, s12, v15
	s_wait_alu 0xfffd
	s_delay_alu instid0(VALU_DEP_2)
	v_add_co_ci_u32_e32 v16, vcc_lo, s13, v16, vcc_lo
	global_load_b32 v11, v[15:16], off
.LBB0_30:
	s_wait_alu 0xfffe
	s_or_b32 exec_lo, exec_lo, s5
	s_wait_loadcnt 0x0
	v_pk_add_f16 v1, v4, v10 neg_lo:[0,1] neg_hi:[0,1]
	v_pk_add_f16 v10, v6, v12 op_sel:[1,1] op_sel_hi:[0,0] neg_lo:[0,1] neg_hi:[0,1]
	v_pk_add_f16 v8, v3, v8 neg_lo:[0,1] neg_hi:[0,1]
	v_pk_add_f16 v11, v5, v11 op_sel:[1,1] op_sel_hi:[0,0] neg_lo:[0,1] neg_hi:[0,1]
	s_load_b64 s[6:7], s[6:7], 0x0
	v_pk_fma_f16 v4, v4, 2.0, v1 op_sel_hi:[1,0,1] neg_lo:[0,0,1] neg_hi:[0,0,1]
	v_pk_add_f16 v12, v1, v10 neg_lo:[0,1] neg_hi:[0,1]
	v_pk_add_f16 v16, v1, v10
	v_pk_add_f16 v13, v8, v11 neg_lo:[0,1] neg_hi:[0,1]
	v_pk_add_f16 v15, v8, v11
	v_pk_fma_f16 v6, v6, 2.0, v10 op_sel:[1,0,0] op_sel_hi:[0,0,1] neg_lo:[0,0,1] neg_hi:[0,0,1]
	v_pk_fma_f16 v3, v3, 2.0, v8 op_sel_hi:[1,0,1] neg_lo:[0,0,1] neg_hi:[0,0,1]
	v_pk_fma_f16 v5, v5, 2.0, v11 op_sel:[1,0,0] op_sel_hi:[0,0,1] neg_lo:[0,0,1] neg_hi:[0,0,1]
	v_bfi_b32 v12, 0xffff, v12, v16
	v_bfi_b32 v10, 0xffff, v13, v15
	v_pk_add_f16 v6, v4, v6 op_sel:[0,1] op_sel_hi:[1,0] neg_lo:[0,1] neg_hi:[0,1]
	v_lshlrev_b32_e32 v11, 8, v14
	v_pk_add_f16 v5, v3, v5 op_sel:[1,0] op_sel_hi:[0,1] neg_lo:[0,1] neg_hi:[0,1]
	v_pk_fma_f16 v1, v1, 2.0, v12 op_sel_hi:[1,0,1] neg_lo:[0,0,1] neg_hi:[0,0,1]
	v_pk_fma_f16 v8, v8, 2.0, v10 op_sel_hi:[1,0,1] neg_lo:[0,0,1] neg_hi:[0,0,1]
	;; [unrolled: 1-line block ×3, first 2 shown]
	v_lshlrev_b32_e32 v16, 2, v9
	v_pk_fma_f16 v3, v3, 2.0, v5 op_sel:[1,0,0] op_sel_hi:[0,0,1] neg_lo:[0,0,1] neg_hi:[0,0,1]
	v_pk_add_f16 v19, v6, v5 neg_lo:[0,1] neg_hi:[0,1]
	v_pk_mul_f16 v13, 0x39a8, v8 op_sel_hi:[0,1]
	v_pk_fma_f16 v8, 0x39a8, v8, v1 op_sel_hi:[0,1,1] neg_lo:[0,1,0] neg_hi:[0,1,0]
	v_lshrrev_b32_e32 v17, 16, v4
	v_pk_add_f16 v3, v4, v3 op_sel:[0,1] op_sel_hi:[1,0] neg_lo:[0,1] neg_hi:[0,1]
	v_pk_add_f16 v5, v6, v5
	v_add3_u32 v11, 0, v11, v16
	v_pk_add_f16 v15, v8, v13 op_sel:[0,1] op_sel_hi:[1,0] neg_lo:[0,1] neg_hi:[0,1]
	v_pk_add_f16 v8, v8, v13 op_sel:[0,1] op_sel_hi:[1,0]
	v_pk_mul_f16 v13, 0x39a8, v10 op_sel_hi:[0,1]
	v_pk_fma_f16 v10, 0x39a8, v10, v12 op_sel_hi:[0,1,1]
	v_lshrrev_b32_e32 v18, 16, v3
	v_fma_f16 v4, v4, 2.0, -v3
	v_bfi_b32 v5, 0xffff, v19, v5
	v_bfi_b32 v8, 0xffff, v15, v8
	v_pk_add_f16 v20, v10, v13 op_sel:[0,1] op_sel_hi:[1,0] neg_lo:[0,1] neg_hi:[0,1]
	v_pk_add_f16 v10, v10, v13 op_sel:[0,1] op_sel_hi:[1,0]
	v_fma_f16 v13, v17, 2.0, -v18
	v_bfe_u32 v17, v0, 3, 3
	v_and_b32_e32 v4, 0xffff, v4
	v_pk_fma_f16 v6, v6, 2.0, v5 op_sel_hi:[1,0,1] neg_lo:[0,0,1] neg_hi:[0,0,1]
	v_bfi_b32 v10, 0xffff, v20, v10
	v_lshlrev_b32_e32 v13, 16, v13
	v_pk_fma_f16 v1, v1, 2.0, v8 op_sel_hi:[1,0,1] neg_lo:[0,0,1] neg_hi:[0,0,1]
	v_lshlrev_b32_e32 v18, 2, v14
	s_delay_alu instid0(VALU_DEP_4)
	v_pk_fma_f16 v0, v12, 2.0, v10 op_sel_hi:[1,0,1] neg_lo:[0,0,1] neg_hi:[0,0,1]
	v_mul_u32_u24_e32 v12, 3, v17
	v_or_b32_e32 v4, v13, v4
	ds_store_2addr_b32 v11, v6, v0 offset0:16 offset1:24
	ds_store_2addr_b32 v11, v4, v1 offset1:8
	ds_store_2addr_b32 v11, v3, v8 offset0:32 offset1:40
	ds_store_2addr_b32 v11, v5, v10 offset0:48 offset1:56
	v_lshlrev_b32_e32 v0, 2, v12
	global_wb scope:SCOPE_SE
	s_wait_dscnt 0x0
	s_wait_kmcnt 0x0
	s_barrier_signal -1
	s_barrier_wait -1
	global_inv scope:SCOPE_SE
	global_load_b96 v[3:5], v0, s[2:3]
	v_mad_i32_i24 v8, 0xffffff20, v14, v11
	v_lshlrev_b32_e32 v6, 5, v2
	ds_load_2addr_stride64_b32 v[0:1], v8 offset1:8
	ds_load_2addr_stride64_b32 v[10:11], v8 offset0:12 offset1:16
	ds_load_2addr_stride64_b32 v[12:13], v8 offset0:20 offset1:24
	v_add3_u32 v15, 0, v6, v16
	v_and_or_b32 v6, 0x1e0, v18, v17
	ds_load_b32 v18, v8 offset:7168
	v_lshlrev_b32_e32 v2, 2, v2
	v_lshlrev_b32_e32 v6, 5, v6
	s_delay_alu instid0(VALU_DEP_2)
	v_and_or_b32 v2, 0x3e0, v2, v17
	ds_load_b32 v17, v15
	global_wb scope:SCOPE_SE
	s_wait_loadcnt_dscnt 0x0
	v_add3_u32 v6, 0, v6, v16
	s_barrier_signal -1
	v_lshlrev_b32_e32 v2, 5, v2
	s_barrier_wait -1
	global_inv scope:SCOPE_SE
	v_lshrrev_b32_e32 v25, 16, v0
	v_add3_u32 v2, 0, v2, v16
	v_lshrrev_b32_e32 v16, 16, v1
	v_lshrrev_b32_e32 v19, 16, v11
	;; [unrolled: 1-line block ×10, first 2 shown]
	s_delay_alu instid0(VALU_DEP_3) | instskip(SKIP_1) | instid1(VALU_DEP_4)
	v_mul_f16_e32 v29, v24, v16
	v_mul_f16_e32 v30, v24, v1
	;; [unrolled: 1-line block ×12, first 2 shown]
	v_fma_f16 v1, v3, v1, -v29
	v_fmac_f16_e32 v30, v3, v16
	v_fma_f16 v11, v4, v11, -v31
	v_fmac_f16_e32 v32, v4, v19
	;; [unrolled: 2-line block ×6, first 2 shown]
	v_sub_f16_e32 v5, v0, v11
	v_sub_f16_e32 v11, v25, v32
	;; [unrolled: 1-line block ×8, first 2 shown]
	v_fma_f16 v0, v0, 2.0, -v5
	v_fma_f16 v19, v25, 2.0, -v11
	;; [unrolled: 1-line block ×8, first 2 shown]
	v_sub_f16_e32 v13, v5, v13
	v_add_f16_e32 v12, v11, v12
	v_sub_f16_e32 v1, v0, v1
	v_sub_f16_e32 v20, v19, v20
	;; [unrolled: 1-line block ×3, first 2 shown]
	v_add_f16_e32 v4, v16, v4
	v_sub_f16_e32 v10, v17, v10
	v_sub_f16_e32 v22, v21, v22
	v_fma_f16 v5, v5, 2.0, -v13
	v_fma_f16 v11, v11, 2.0, -v12
	v_pack_b32_f16 v12, v13, v12
	v_fma_f16 v0, v0, 2.0, -v1
	v_fma_f16 v13, v19, 2.0, -v20
	;; [unrolled: 1-line block ×4, first 2 shown]
	v_pack_b32_f16 v4, v18, v4
	v_fma_f16 v17, v17, 2.0, -v10
	v_fma_f16 v18, v21, 2.0, -v22
	v_pack_b32_f16 v5, v5, v11
	v_pack_b32_f16 v0, v0, v13
	;; [unrolled: 1-line block ×6, first 2 shown]
	ds_store_2addr_stride64_b32 v6, v0, v5 offset1:1
	ds_store_2addr_stride64_b32 v6, v1, v12 offset0:2 offset1:3
	ds_store_2addr_stride64_b32 v2, v11, v3 offset1:1
	ds_store_2addr_stride64_b32 v2, v10, v4 offset0:2 offset1:3
	global_wb scope:SCOPE_SE
	s_wait_dscnt 0x0
	s_barrier_signal -1
	s_barrier_wait -1
	global_inv scope:SCOPE_SE
	s_and_saveexec_b32 s5, s1
	s_cbranch_execz .LBB0_32
; %bb.31:
	v_mul_u32_u24_e32 v0, 7, v14
	v_or_b32_e32 v18, 0xe0, v14
	v_or_b32_e32 v20, 0xc0, v14
	v_mul_lo_u32 v17, s18, v9
	v_mul_lo_u32 v21, v14, v7
	v_dual_mov_b32 v19, 0 :: v_dual_lshlrev_b32 v4, 2, v0
	v_mul_lo_u32 v23, s16, v14
	v_or_b32_e32 v25, 32, v14
	v_mul_lo_u32 v29, v18, v7
	s_clause 0x1
	global_load_b128 v[0:3], v4, s[2:3] offset:96
	global_load_b96 v[4:6], v4, s[2:3] offset:112
	v_mul_lo_u32 v30, v20, v7
	v_lshlrev_b32_e32 v26, 5, v7
	v_or_b32_e32 v22, 0x60, v14
	s_mul_i32 s2, s6, s4
	v_or_b32_e32 v27, 64, v14
	v_mul_lo_u32 v25, s16, v25
	s_add_co_i32 s2, s2, s0
	v_lshlrev_b32_e32 v24, 6, v7
	v_mul_lo_u32 v7, v22, v7
	v_mul_lo_u32 v31, s16, v22
	;; [unrolled: 1-line block ×4, first 2 shown]
	v_and_b32_e32 v20, 31, v21
	v_add3_u32 v18, v17, v23, s2
	v_lshrrev_b32_e32 v22, 8, v21
	v_lshrrev_b32_e32 v23, 3, v21
	;; [unrolled: 1-line block ×3, first 2 shown]
	v_and_b32_e32 v35, 31, v29
	v_lshrrev_b32_e32 v36, 8, v30
	v_and_b32_e32 v37, 31, v30
	v_lshrrev_b32_e32 v38, 3, v30
	v_sub_nc_u32_e32 v30, v30, v26
	v_mul_lo_u32 v27, s16, v27
	v_lshrrev_b32_e32 v29, 3, v29
	v_lshl_add_u32 v39, v20, 2, 0
	v_lshlrev_b64_e32 v[20:21], 2, v[18:19]
	v_and_b32_e32 v22, 0x7c, v22
	v_and_b32_e32 v23, 0x7c, v23
	v_add3_u32 v18, v17, v25, s2
	v_and_b32_e32 v25, 0x7c, v33
	v_lshl_add_u32 v33, v35, 2, 0
	v_and_b32_e32 v35, 0x7c, v36
	v_lshl_add_u32 v36, v37, 2, 0
	v_and_b32_e32 v37, 0x7c, v38
	v_lshrrev_b32_e32 v38, 8, v30
	v_and_b32_e32 v42, 31, v30
	v_lshrrev_b32_e32 v43, 3, v30
	v_sub_nc_u32_e32 v30, v30, v26
	v_or_b32_e32 v28, 0x80, v14
	v_and_b32_e32 v29, 0x7c, v29
	s_add_co_i32 s1, 0, 0x2000
	v_or_b32_e32 v14, 0xa0, v14
	v_add_nc_u32_e32 v44, s1, v22
	v_add_nc_u32_e32 v45, s1, v23
	v_lshlrev_b64_e32 v[22:23], 2, v[18:19]
	v_add3_u32 v18, v17, v27, s2
	v_add_nc_u32_e32 v27, s1, v25
	v_lshrrev_b32_e32 v54, 8, v30
	v_and_b32_e32 v55, 31, v30
	v_lshrrev_b32_e32 v56, 3, v30
	v_sub_nc_u32_e32 v30, v30, v24
	v_mul_lo_u32 v28, s16, v28
	v_lshrrev_b32_e32 v40, 8, v7
	v_add_nc_u32_e32 v29, s1, v29
	v_and_b32_e32 v43, 0x7c, v43
	v_add_nc_u32_e32 v35, s1, v35
	v_and_b32_e32 v41, 31, v7
	v_lshrrev_b32_e32 v7, 3, v7
	v_add_nc_u32_e32 v37, s1, v37
	ds_load_2addr_stride64_b32 v[12:13], v8 offset0:20 offset1:24
	ds_load_2addr_stride64_b32 v[10:11], v8 offset0:12 offset1:16
	ds_load_b32 v16, v15
	ds_load_b32 v15, v8 offset:7168
	ds_load_2addr_stride64_b32 v[8:9], v8 offset1:8
	v_and_b32_e32 v38, 0x7c, v38
	v_lshlrev_b64_e32 v[24:25], 2, v[18:19]
	v_add3_u32 v18, v17, v31, s2
	ds_load_b32 v57, v27 offset:256
	ds_load_b32 v58, v33 offset:8192
	;; [unrolled: 1-line block ×4, first 2 shown]
	ds_load_u16 v36, v36 offset:8192
	ds_load_b32 v37, v37 offset:128
	ds_load_b32 v60, v39 offset:8192
	ds_load_u16 v39, v39 offset:8194
	v_and_b32_e32 v33, 0x7c, v54
	v_lshrrev_b32_e32 v54, 8, v30
	v_mul_lo_u32 v14, s16, v14
	v_and_b32_e32 v40, 0x7c, v40
	v_add_nc_u32_e32 v31, s1, v43
	v_and_b32_e32 v43, 0x7c, v56
	v_and_b32_e32 v7, 0x7c, v7
	v_add_nc_u32_e32 v29, s1, v38
	v_lshl_add_u32 v38, v55, 2, 0
	v_and_b32_e32 v55, 31, v30
	v_lshrrev_b32_e32 v56, 3, v30
	v_sub_nc_u32_e32 v30, v30, v26
	v_lshlrev_b64_e32 v[26:27], 2, v[18:19]
	v_add3_u32 v18, v17, v28, s2
	v_add_nc_u32_e32 v33, s1, v33
	v_and_b32_e32 v54, 0x7c, v54
	v_lshl_add_u32 v42, v42, 2, 0
	v_add_nc_u32_e32 v40, s1, v40
	v_add_nc_u32_e32 v43, s1, v43
	v_lshl_add_u32 v41, v41, 2, 0
	v_add_nc_u32_e32 v7, s1, v7
	ds_load_b32 v61, v29 offset:256
	ds_load_u16 v62, v42 offset:8192
	v_lshlrev_b64_e32 v[28:29], 2, v[18:19]
	v_add3_u32 v18, v17, v14, s2
	ds_load_b32 v14, v33 offset:256
	ds_load_u16 v65, v38 offset:8192
	ds_load_b32 v43, v43 offset:128
	ds_load_u16 v38, v38 offset:8194
	;; [unrolled: 2-line block ×3, first 2 shown]
	v_add_nc_u32_e32 v33, s1, v54
	v_lshl_add_u32 v55, v55, 2, 0
	v_and_b32_e32 v56, 0x7c, v56
	v_lshrrev_b32_e32 v63, 8, v30
	ds_load_b32 v40, v40 offset:256
	ds_load_b32 v41, v41 offset:8192
	;; [unrolled: 1-line block ×4, first 2 shown]
	ds_load_u16 v68, v55 offset:8192
	v_and_b32_e32 v64, 31, v30
	v_lshrrev_b32_e32 v30, 3, v30
	v_add_nc_u32_e32 v54, s1, v56
	v_and_b32_e32 v56, 0x7c, v63
	s_wait_dscnt 0x13
	v_lshrrev_b32_e32 v70, 16, v58
	v_lshl_add_u32 v63, v64, 2, 0
	v_and_b32_e32 v64, 0x7c, v30
	v_lshlrev_b64_e32 v[30:31], 2, v[18:19]
	v_add_nc_u32_e32 v56, s1, v56
	v_add3_u32 v18, v17, v32, s2
	ds_load_u16 v69, v63 offset:8192
	ds_load_b32 v56, v56 offset:256
	ds_load_b32 v54, v54 offset:128
	ds_load_u16 v55, v55 offset:8194
	v_add_nc_u32_e32 v64, s1, v64
	v_lshlrev_b64_e32 v[32:33], 2, v[18:19]
	v_add3_u32 v18, v17, v34, s2
	s_wait_dscnt 0x16
	v_lshrrev_b32_e32 v71, 16, v59
	s_wait_dscnt 0x13
	v_lshrrev_b32_e32 v73, 16, v37
	;; [unrolled: 2-line block ×5, first 2 shown]
	ds_load_b32 v44, v44 offset:256
	ds_load_b32 v45, v45 offset:128
	;; [unrolled: 1-line block ×3, first 2 shown]
	ds_load_u16 v63, v63 offset:8194
	v_lshlrev_b64_e32 v[17:18], 2, v[18:19]
	v_mul_f16_e32 v19, v70, v71
	v_mul_f16_e32 v71, v58, v71
	;; [unrolled: 1-line block ×4, first 2 shown]
	v_lshrrev_b32_e32 v80, 16, v66
	v_mul_f16_e32 v81, v76, v77
	v_mul_f16_e32 v77, v41, v77
	v_lshrrev_b32_e32 v34, 16, v57
	v_lshrrev_b32_e32 v72, 16, v35
	;; [unrolled: 1-line block ×3, first 2 shown]
	v_fma_f16 v19, v58, v59, -v19
	v_fmac_f16_e32 v71, v70, v59
	v_fma_f16 v36, v36, v37, -v78
	v_fmac_f16_e32 v73, v74, v37
	v_mul_f16_e32 v37, v42, v80
	v_mul_f16_e32 v58, v62, v80
	v_lshrrev_b32_e32 v70, 16, v43
	v_fma_f16 v41, v41, v7, -v81
	v_fmac_f16_e32 v77, v76, v7
	v_lshrrev_b32_e32 v79, 16, v61
	v_mul_f16_e32 v7, v71, v34
	v_mul_f16_e32 v34, v19, v34
	v_mul_f16_e32 v74, v73, v72
	v_mul_f16_e32 v72, v36, v72
	v_fma_f16 v37, v62, v66, -v37
	v_fmac_f16_e32 v58, v42, v66
	v_mul_f16_e32 v42, v38, v70
	v_mul_f16_e32 v62, v65, v70
	v_mul_f16_e32 v66, v77, v75
	v_mul_f16_e32 v70, v41, v75
	s_wait_dscnt 0x5
	v_lshrrev_b32_e32 v76, 16, v54
	v_lshrrev_b32_e32 v59, 16, v14
	v_fma_f16 v7, v57, v19, -v7
	v_fmac_f16_e32 v34, v57, v71
	v_fma_f16 v19, v35, v36, -v74
	v_fmac_f16_e32 v72, v35, v73
	v_mul_f16_e32 v35, v58, v79
	v_mul_f16_e32 v36, v37, v79
	v_fma_f16 v42, v65, v43, -v42
	v_fmac_f16_e32 v62, v38, v43
	v_fma_f16 v38, v40, v41, -v66
	v_fmac_f16_e32 v70, v40, v77
	s_wait_dscnt 0x4
	v_mul_f16_e32 v40, v55, v76
	v_mul_f16_e32 v41, v68, v76
	s_wait_dscnt 0x1
	v_lshrrev_b32_e32 v57, 16, v64
	v_lshrrev_b32_e32 v66, 16, v45
	;; [unrolled: 1-line block ×3, first 2 shown]
	v_fma_f16 v35, v61, v37, -v35
	v_fmac_f16_e32 v36, v61, v58
	v_mul_f16_e32 v37, v62, v59
	v_mul_f16_e32 v58, v42, v59
	v_fma_f16 v40, v68, v54, -v40
	v_fmac_f16_e32 v41, v55, v54
	s_wait_dscnt 0x0
	v_mul_f16_e32 v54, v63, v57
	v_mul_f16_e32 v55, v69, v57
	;; [unrolled: 1-line block ×3, first 2 shown]
	v_lshrrev_b32_e32 v43, 16, v56
	v_lshrrev_b32_e32 v65, 16, v44
	v_mul_f16_e32 v57, v39, v66
	v_fma_f16 v37, v14, v42, -v37
	v_fmac_f16_e32 v58, v14, v62
	v_mul_f16_e32 v14, v41, v75
	v_fmac_f16_e32 v55, v63, v64
	v_fma_f16 v54, v69, v64, -v54
	v_fmac_f16_e32 v59, v45, v39
	v_mul_f16_e32 v42, v40, v75
	v_fma_f16 v39, v60, v45, -v57
	v_fma_f16 v14, v67, v40, -v14
	v_mul_f16_e32 v40, v55, v43
	v_mul_f16_e32 v43, v54, v43
	;; [unrolled: 1-line block ×3, first 2 shown]
	v_lshrrev_b32_e32 v46, 16, v16
	v_lshrrev_b32_e32 v47, 16, v12
	;; [unrolled: 1-line block ×7, first 2 shown]
	v_fmac_f16_e32 v42, v67, v41
	v_mul_f16_e32 v41, v65, v39
	v_fma_f16 v40, v56, v54, -v40
	v_fmac_f16_e32 v43, v56, v55
	v_fma_f16 v39, v44, v39, -v45
	v_lshrrev_b32_e32 v50, 16, v8
	v_fmac_f16_e32 v41, v44, v59
	v_add_co_u32 v20, vcc_lo, s14, v20
	s_wait_alu 0xfffd
	v_add_co_ci_u32_e32 v21, vcc_lo, s15, v21, vcc_lo
	v_add_co_u32 v22, vcc_lo, s14, v22
	s_wait_alu 0xfffd
	v_add_co_ci_u32_e32 v23, vcc_lo, s15, v23, vcc_lo
	;; [unrolled: 3-line block ×6, first 2 shown]
	s_wait_loadcnt 0x1
	v_lshrrev_b32_e32 v45, 16, v0
	v_lshrrev_b32_e32 v54, 16, v1
	;; [unrolled: 1-line block ×3, first 2 shown]
	s_wait_loadcnt 0x0
	v_lshrrev_b32_e32 v56, 16, v4
	v_lshrrev_b32_e32 v57, 16, v3
	;; [unrolled: 1-line block ×4, first 2 shown]
	v_mul_f16_e32 v62, v45, v46
	v_mul_f16_e32 v63, v56, v47
	v_mul_f16_e32 v64, v55, v10
	v_mul_f16_e32 v65, v15, v60
	v_mul_f16_e32 v66, v57, v11
	v_mul_f16_e32 v67, v54, v52
	v_mul_f16_e32 v68, v61, v53
	v_mul_f16_e32 v45, v45, v16
	v_mul_f16_e32 v56, v56, v12
	v_mul_f16_e32 v55, v55, v48
	v_mul_f16_e32 v60, v49, v60
	v_mul_f16_e32 v57, v57, v51
	v_mul_f16_e32 v54, v54, v9
	v_mul_f16_e32 v61, v61, v13
	v_fma_f16 v16, v0, v16, -v62
	v_fma_f16 v12, v4, v12, -v63
	v_fmac_f16_e32 v64, v2, v48
	v_fmac_f16_e32 v65, v49, v6
	;; [unrolled: 1-line block ×3, first 2 shown]
	v_fma_f16 v9, v1, v9, -v67
	v_fma_f16 v13, v5, v13, -v68
	v_fmac_f16_e32 v45, v0, v46
	v_fmac_f16_e32 v56, v4, v47
	v_fma_f16 v0, v2, v10, -v55
	v_fma_f16 v2, v15, v6, -v60
	;; [unrolled: 1-line block ×3, first 2 shown]
	v_fmac_f16_e32 v54, v1, v52
	v_fmac_f16_e32 v61, v5, v53
	v_sub_f16_e32 v1, v16, v12
	v_sub_f16_e32 v4, v64, v65
	;; [unrolled: 1-line block ×9, first 2 shown]
	v_add_f16_e32 v13, v5, v6
	v_add_f16_e32 v15, v10, v2
	v_fma_f16 v46, v50, 2.0, -v5
	v_sub_f16_e32 v44, v3, v11
	v_fma_f16 v11, v54, 2.0, -v11
	v_fma_f16 v16, v16, 2.0, -v1
	;; [unrolled: 1-line block ×7, first 2 shown]
	v_fmamk_f16 v9, v15, 0x39a8, v13
	v_fmamk_f16 v45, v12, 0x39a8, v44
	v_sub_f16_e32 v11, v46, v11
	v_sub_f16_e32 v0, v16, v0
	;; [unrolled: 1-line block ×4, first 2 shown]
	v_fma_f16 v1, v1, 2.0, -v12
	v_fma_f16 v5, v5, 2.0, -v13
	;; [unrolled: 1-line block ×4, first 2 shown]
	v_fmac_f16_e32 v9, 0x39a8, v12
	v_fmac_f16_e32 v45, 0xb9a8, v15
	v_add_f16_e32 v12, v11, v0
	v_sub_f16_e32 v15, v6, v4
	v_fmamk_f16 v47, v10, 0xb9a8, v5
	v_fmamk_f16 v48, v1, 0xb9a8, v3
	v_fma_f16 v46, v46, 2.0, -v11
	v_fma_f16 v4, v8, 2.0, -v4
	;; [unrolled: 1-line block ×4, first 2 shown]
	v_mul_f16_e32 v8, v45, v34
	v_mul_f16_e32 v16, v9, v34
	;; [unrolled: 1-line block ×4, first 2 shown]
	v_fmac_f16_e32 v47, 0x39a8, v1
	v_fmac_f16_e32 v48, 0xb9a8, v10
	v_sub_f16_e32 v1, v46, v4
	v_sub_f16_e32 v0, v2, v0
	v_fma_f16 v10, v44, 2.0, -v45
	v_fma_f16 v6, v6, 2.0, -v15
	;; [unrolled: 1-line block ×4, first 2 shown]
	v_fmac_f16_e32 v8, v9, v7
	v_fma_f16 v7, v45, v7, -v16
	v_fmac_f16_e32 v34, v12, v19
	v_fma_f16 v9, v15, v19, -v49
	v_mul_f16_e32 v19, v10, v70
	v_mul_f16_e32 v44, v6, v42
	v_fma_f16 v45, v46, 2.0, -v1
	v_fma_f16 v2, v2, 2.0, -v0
	v_mul_f16_e32 v12, v48, v36
	v_mul_f16_e32 v13, v47, v36
	;; [unrolled: 1-line block ×3, first 2 shown]
	v_fma_f16 v5, v5, 2.0, -v47
	v_fma_f16 v3, v3, 2.0, -v48
	v_mul_f16_e32 v36, v4, v70
	v_mul_f16_e32 v42, v11, v42
	v_fmac_f16_e32 v19, v4, v38
	v_fmac_f16_e32 v44, v11, v14
	v_mul_f16_e32 v4, v2, v41
	v_mul_f16_e32 v11, v45, v41
	;; [unrolled: 1-line block ×3, first 2 shown]
	v_fmac_f16_e32 v12, v47, v35
	v_fma_f16 v13, v48, v35, -v13
	v_fmac_f16_e32 v15, v1, v37
	v_mul_f16_e32 v1, v43, v3
	v_mul_f16_e32 v35, v43, v5
	v_fmac_f16_e32 v4, v45, v39
	v_fma_f16 v2, v2, v39, -v11
	v_fma_f16 v6, v6, v14, -v42
	v_fmac_f16_e32 v1, v40, v5
	v_fma_f16 v3, v40, v3, -v35
	v_fma_f16 v5, v10, v38, -v36
	;; [unrolled: 1-line block ×3, first 2 shown]
	v_pack_b32_f16 v2, v2, v4
	v_pack_b32_f16 v6, v6, v44
	v_pack_b32_f16 v1, v3, v1
	v_pack_b32_f16 v4, v5, v19
	v_pack_b32_f16 v5, v0, v15
	v_add_co_u32 v0, vcc_lo, s14, v32
	s_clause 0x2
	global_store_b32 v[20:21], v2, off
	global_store_b32 v[22:23], v1, off
	;; [unrolled: 1-line block ×3, first 2 shown]
	s_wait_alu 0xfffd
	v_add_co_ci_u32_e32 v1, vcc_lo, s15, v33, vcc_lo
	v_pack_b32_f16 v10, v13, v12
	v_add_co_u32 v2, vcc_lo, s14, v17
	v_pack_b32_f16 v6, v9, v34
	s_wait_alu 0xfffd
	v_add_co_ci_u32_e32 v3, vcc_lo, s15, v18, vcc_lo
	v_pack_b32_f16 v7, v7, v8
	s_clause 0x4
	global_store_b32 v[26:27], v4, off
	global_store_b32 v[28:29], v5, off
	;; [unrolled: 1-line block ×5, first 2 shown]
.LBB0_32:
	s_nop 0
	s_sendmsg sendmsg(MSG_DEALLOC_VGPRS)
	s_endpgm
	.section	.rodata,"a",@progbits
	.p2align	6, 0x0
	.amdhsa_kernel fft_rtc_fwd_len256_factors_8_4_8_wgs_256_tpt_32_half_op_CI_CI_sbcc_twdbase5_3step_dirReg_intrinsicReadWrite
		.amdhsa_group_segment_fixed_size 0
		.amdhsa_private_segment_fixed_size 0
		.amdhsa_kernarg_size 112
		.amdhsa_user_sgpr_count 2
		.amdhsa_user_sgpr_dispatch_ptr 0
		.amdhsa_user_sgpr_queue_ptr 0
		.amdhsa_user_sgpr_kernarg_segment_ptr 1
		.amdhsa_user_sgpr_dispatch_id 0
		.amdhsa_user_sgpr_private_segment_size 0
		.amdhsa_wavefront_size32 1
		.amdhsa_uses_dynamic_stack 0
		.amdhsa_enable_private_segment 0
		.amdhsa_system_sgpr_workgroup_id_x 1
		.amdhsa_system_sgpr_workgroup_id_y 0
		.amdhsa_system_sgpr_workgroup_id_z 0
		.amdhsa_system_sgpr_workgroup_info 0
		.amdhsa_system_vgpr_workitem_id 0
		.amdhsa_next_free_vgpr 82
		.amdhsa_next_free_sgpr 60
		.amdhsa_reserve_vcc 1
		.amdhsa_float_round_mode_32 0
		.amdhsa_float_round_mode_16_64 0
		.amdhsa_float_denorm_mode_32 3
		.amdhsa_float_denorm_mode_16_64 3
		.amdhsa_fp16_overflow 0
		.amdhsa_workgroup_processor_mode 1
		.amdhsa_memory_ordered 1
		.amdhsa_forward_progress 0
		.amdhsa_round_robin_scheduling 0
		.amdhsa_exception_fp_ieee_invalid_op 0
		.amdhsa_exception_fp_denorm_src 0
		.amdhsa_exception_fp_ieee_div_zero 0
		.amdhsa_exception_fp_ieee_overflow 0
		.amdhsa_exception_fp_ieee_underflow 0
		.amdhsa_exception_fp_ieee_inexact 0
		.amdhsa_exception_int_div_zero 0
	.end_amdhsa_kernel
	.text
.Lfunc_end0:
	.size	fft_rtc_fwd_len256_factors_8_4_8_wgs_256_tpt_32_half_op_CI_CI_sbcc_twdbase5_3step_dirReg_intrinsicReadWrite, .Lfunc_end0-fft_rtc_fwd_len256_factors_8_4_8_wgs_256_tpt_32_half_op_CI_CI_sbcc_twdbase5_3step_dirReg_intrinsicReadWrite
                                        ; -- End function
	.section	.AMDGPU.csdata,"",@progbits
; Kernel info:
; codeLenInByte = 5680
; NumSgprs: 62
; NumVgprs: 82
; ScratchSize: 0
; MemoryBound: 0
; FloatMode: 240
; IeeeMode: 1
; LDSByteSize: 0 bytes/workgroup (compile time only)
; SGPRBlocks: 7
; VGPRBlocks: 10
; NumSGPRsForWavesPerEU: 62
; NumVGPRsForWavesPerEU: 82
; Occupancy: 16
; WaveLimiterHint : 1
; COMPUTE_PGM_RSRC2:SCRATCH_EN: 0
; COMPUTE_PGM_RSRC2:USER_SGPR: 2
; COMPUTE_PGM_RSRC2:TRAP_HANDLER: 0
; COMPUTE_PGM_RSRC2:TGID_X_EN: 1
; COMPUTE_PGM_RSRC2:TGID_Y_EN: 0
; COMPUTE_PGM_RSRC2:TGID_Z_EN: 0
; COMPUTE_PGM_RSRC2:TIDIG_COMP_CNT: 0
	.text
	.p2alignl 7, 3214868480
	.fill 96, 4, 3214868480
	.type	__hip_cuid_30a3a67a8b38126d,@object ; @__hip_cuid_30a3a67a8b38126d
	.section	.bss,"aw",@nobits
	.globl	__hip_cuid_30a3a67a8b38126d
__hip_cuid_30a3a67a8b38126d:
	.byte	0                               ; 0x0
	.size	__hip_cuid_30a3a67a8b38126d, 1

	.ident	"AMD clang version 19.0.0git (https://github.com/RadeonOpenCompute/llvm-project roc-6.4.0 25133 c7fe45cf4b819c5991fe208aaa96edf142730f1d)"
	.section	".note.GNU-stack","",@progbits
	.addrsig
	.addrsig_sym __hip_cuid_30a3a67a8b38126d
	.amdgpu_metadata
---
amdhsa.kernels:
  - .args:
      - .actual_access:  read_only
        .address_space:  global
        .offset:         0
        .size:           8
        .value_kind:     global_buffer
      - .address_space:  global
        .offset:         8
        .size:           8
        .value_kind:     global_buffer
      - .offset:         16
        .size:           8
        .value_kind:     by_value
      - .actual_access:  read_only
        .address_space:  global
        .offset:         24
        .size:           8
        .value_kind:     global_buffer
      - .actual_access:  read_only
        .address_space:  global
        .offset:         32
        .size:           8
        .value_kind:     global_buffer
      - .actual_access:  read_only
        .address_space:  global
        .offset:         40
        .size:           8
        .value_kind:     global_buffer
      - .offset:         48
        .size:           8
        .value_kind:     by_value
      - .actual_access:  read_only
        .address_space:  global
        .offset:         56
        .size:           8
        .value_kind:     global_buffer
      - .actual_access:  read_only
        .address_space:  global
        .offset:         64
        .size:           8
        .value_kind:     global_buffer
      - .offset:         72
        .size:           4
        .value_kind:     by_value
      - .actual_access:  read_only
        .address_space:  global
        .offset:         80
        .size:           8
        .value_kind:     global_buffer
      - .actual_access:  read_only
        .address_space:  global
        .offset:         88
        .size:           8
        .value_kind:     global_buffer
      - .actual_access:  read_only
        .address_space:  global
        .offset:         96
        .size:           8
        .value_kind:     global_buffer
      - .actual_access:  write_only
        .address_space:  global
        .offset:         104
        .size:           8
        .value_kind:     global_buffer
    .group_segment_fixed_size: 0
    .kernarg_segment_align: 8
    .kernarg_segment_size: 112
    .language:       OpenCL C
    .language_version:
      - 2
      - 0
    .max_flat_workgroup_size: 256
    .name:           fft_rtc_fwd_len256_factors_8_4_8_wgs_256_tpt_32_half_op_CI_CI_sbcc_twdbase5_3step_dirReg_intrinsicReadWrite
    .private_segment_fixed_size: 0
    .sgpr_count:     62
    .sgpr_spill_count: 0
    .symbol:         fft_rtc_fwd_len256_factors_8_4_8_wgs_256_tpt_32_half_op_CI_CI_sbcc_twdbase5_3step_dirReg_intrinsicReadWrite.kd
    .uniform_work_group_size: 1
    .uses_dynamic_stack: false
    .vgpr_count:     82
    .vgpr_spill_count: 0
    .wavefront_size: 32
    .workgroup_processor_mode: 1
amdhsa.target:   amdgcn-amd-amdhsa--gfx1201
amdhsa.version:
  - 1
  - 2
...

	.end_amdgpu_metadata
